;; amdgpu-corpus repo=ROCm/rocSOLVER kind=compiled arch=gfx1100 opt=O3
	.text
	.amdgcn_target "amdgcn-amd-amdhsa--gfx1100"
	.amdhsa_code_object_version 6
	.section	.text._ZN9rocsolver6v33100L10reset_infoIiiiEEvPT_T0_T1_S4_,"axG",@progbits,_ZN9rocsolver6v33100L10reset_infoIiiiEEvPT_T0_T1_S4_,comdat
	.globl	_ZN9rocsolver6v33100L10reset_infoIiiiEEvPT_T0_T1_S4_ ; -- Begin function _ZN9rocsolver6v33100L10reset_infoIiiiEEvPT_T0_T1_S4_
	.p2align	8
	.type	_ZN9rocsolver6v33100L10reset_infoIiiiEEvPT_T0_T1_S4_,@function
_ZN9rocsolver6v33100L10reset_infoIiiiEEvPT_T0_T1_S4_: ; @_ZN9rocsolver6v33100L10reset_infoIiiiEEvPT_T0_T1_S4_
; %bb.0:
	s_clause 0x1
	s_load_b32 s2, s[0:1], 0x24
	s_load_b128 s[4:7], s[0:1], 0x8
	s_waitcnt lgkmcnt(0)
	s_and_b32 s2, s2, 0xffff
	s_delay_alu instid0(SALU_CYCLE_1) | instskip(SKIP_1) | instid1(VALU_DEP_1)
	v_mad_u64_u32 v[1:2], null, s15, s2, v[0:1]
	s_mov_b32 s2, exec_lo
	v_cmpx_gt_i32_e64 s4, v1
	s_cbranch_execz .LBB0_2
; %bb.1:
	s_load_b64 s[0:1], s[0:1], 0x0
	v_ashrrev_i32_e32 v2, 31, v1
	s_mov_b32 s2, s5
	s_delay_alu instid0(SALU_CYCLE_1) | instskip(NEXT) | instid1(VALU_DEP_2)
	v_mad_u64_u32 v[4:5], null, v1, s6, s[2:3]
	v_lshlrev_b64 v[2:3], 2, v[1:2]
	s_waitcnt lgkmcnt(0)
	s_delay_alu instid0(VALU_DEP_1) | instskip(NEXT) | instid1(VALU_DEP_2)
	v_add_co_u32 v0, vcc_lo, s0, v2
	v_add_co_ci_u32_e32 v1, vcc_lo, s1, v3, vcc_lo
	global_store_b32 v[0:1], v4, off
.LBB0_2:
	s_nop 0
	s_sendmsg sendmsg(MSG_DEALLOC_VGPRS)
	s_endpgm
	.section	.rodata,"a",@progbits
	.p2align	6, 0x0
	.amdhsa_kernel _ZN9rocsolver6v33100L10reset_infoIiiiEEvPT_T0_T1_S4_
		.amdhsa_group_segment_fixed_size 0
		.amdhsa_private_segment_fixed_size 0
		.amdhsa_kernarg_size 280
		.amdhsa_user_sgpr_count 15
		.amdhsa_user_sgpr_dispatch_ptr 0
		.amdhsa_user_sgpr_queue_ptr 0
		.amdhsa_user_sgpr_kernarg_segment_ptr 1
		.amdhsa_user_sgpr_dispatch_id 0
		.amdhsa_user_sgpr_private_segment_size 0
		.amdhsa_wavefront_size32 1
		.amdhsa_uses_dynamic_stack 0
		.amdhsa_enable_private_segment 0
		.amdhsa_system_sgpr_workgroup_id_x 1
		.amdhsa_system_sgpr_workgroup_id_y 0
		.amdhsa_system_sgpr_workgroup_id_z 0
		.amdhsa_system_sgpr_workgroup_info 0
		.amdhsa_system_vgpr_workitem_id 0
		.amdhsa_next_free_vgpr 6
		.amdhsa_next_free_sgpr 16
		.amdhsa_reserve_vcc 1
		.amdhsa_float_round_mode_32 0
		.amdhsa_float_round_mode_16_64 0
		.amdhsa_float_denorm_mode_32 3
		.amdhsa_float_denorm_mode_16_64 3
		.amdhsa_dx10_clamp 1
		.amdhsa_ieee_mode 1
		.amdhsa_fp16_overflow 0
		.amdhsa_workgroup_processor_mode 1
		.amdhsa_memory_ordered 1
		.amdhsa_forward_progress 0
		.amdhsa_shared_vgpr_count 0
		.amdhsa_exception_fp_ieee_invalid_op 0
		.amdhsa_exception_fp_denorm_src 0
		.amdhsa_exception_fp_ieee_div_zero 0
		.amdhsa_exception_fp_ieee_overflow 0
		.amdhsa_exception_fp_ieee_underflow 0
		.amdhsa_exception_fp_ieee_inexact 0
		.amdhsa_exception_int_div_zero 0
	.end_amdhsa_kernel
	.section	.text._ZN9rocsolver6v33100L10reset_infoIiiiEEvPT_T0_T1_S4_,"axG",@progbits,_ZN9rocsolver6v33100L10reset_infoIiiiEEvPT_T0_T1_S4_,comdat
.Lfunc_end0:
	.size	_ZN9rocsolver6v33100L10reset_infoIiiiEEvPT_T0_T1_S4_, .Lfunc_end0-_ZN9rocsolver6v33100L10reset_infoIiiiEEvPT_T0_T1_S4_
                                        ; -- End function
	.section	.AMDGPU.csdata,"",@progbits
; Kernel info:
; codeLenInByte = 136
; NumSgprs: 18
; NumVgprs: 6
; ScratchSize: 0
; MemoryBound: 0
; FloatMode: 240
; IeeeMode: 1
; LDSByteSize: 0 bytes/workgroup (compile time only)
; SGPRBlocks: 2
; VGPRBlocks: 0
; NumSGPRsForWavesPerEU: 18
; NumVGPRsForWavesPerEU: 6
; Occupancy: 16
; WaveLimiterHint : 0
; COMPUTE_PGM_RSRC2:SCRATCH_EN: 0
; COMPUTE_PGM_RSRC2:USER_SGPR: 15
; COMPUTE_PGM_RSRC2:TRAP_HANDLER: 0
; COMPUTE_PGM_RSRC2:TGID_X_EN: 1
; COMPUTE_PGM_RSRC2:TGID_Y_EN: 0
; COMPUTE_PGM_RSRC2:TGID_Z_EN: 0
; COMPUTE_PGM_RSRC2:TIDIG_COMP_CNT: 0
	.section	.text._ZN9rocsolver6v33100L15rf_sumLU_kernelIfEEviiPiS2_PT_iS2_S2_S4_S2_S2_S4_,"axG",@progbits,_ZN9rocsolver6v33100L15rf_sumLU_kernelIfEEviiPiS2_PT_iS2_S2_S4_S2_S2_S4_,comdat
	.globl	_ZN9rocsolver6v33100L15rf_sumLU_kernelIfEEviiPiS2_PT_iS2_S2_S4_S2_S2_S4_ ; -- Begin function _ZN9rocsolver6v33100L15rf_sumLU_kernelIfEEviiPiS2_PT_iS2_S2_S4_S2_S2_S4_
	.p2align	8
	.type	_ZN9rocsolver6v33100L15rf_sumLU_kernelIfEEviiPiS2_PT_iS2_S2_S4_S2_S2_S4_,@function
_ZN9rocsolver6v33100L15rf_sumLU_kernelIfEEviiPiS2_PT_iS2_S2_S4_S2_S2_S4_: ; @_ZN9rocsolver6v33100L15rf_sumLU_kernelIfEEviiPiS2_PT_iS2_S2_S4_S2_S2_S4_
; %bb.0:
	s_clause 0x4
	s_load_b32 s3, s[0:1], 0x0
	s_load_b128 s[12:15], s[0:1], 0x8
	s_load_b64 s[20:21], s[0:1], 0x18
	s_load_b256 s[4:11], s[0:1], 0x28
	s_load_b128 s[16:19], s[0:1], 0x48
	s_mov_b32 s22, exec_lo
	s_waitcnt lgkmcnt(0)
	v_cmpx_ge_i32_e64 s3, v0
	s_cbranch_execz .LBB1_3
; %bb.1:
	s_load_b32 s2, s[0:1], 0x64
	v_sub_nc_u32_e32 v3, 0, v0
	v_mov_b32_e32 v1, v0
	s_mov_b32 s24, 0
	s_waitcnt lgkmcnt(0)
	s_and_b32 s23, s2, 0xffff
	.p2align	6
.LBB1_2:                                ; =>This Inner Loop Header: Depth=1
	s_delay_alu instid0(VALU_DEP_1) | instskip(NEXT) | instid1(VALU_DEP_1)
	v_ashrrev_i32_e32 v2, 31, v1
	v_lshlrev_b64 v[4:5], 2, v[1:2]
	v_add_nc_u32_e32 v1, s23, v1
	s_delay_alu instid0(VALU_DEP_2) | instskip(NEXT) | instid1(VALU_DEP_3)
	v_add_co_u32 v6, vcc_lo, s12, v4
	v_add_co_ci_u32_e32 v7, vcc_lo, s13, v5, vcc_lo
	v_add_co_u32 v8, vcc_lo, s4, v4
	v_add_co_ci_u32_e32 v9, vcc_lo, s5, v5, vcc_lo
	v_cmp_lt_i32_e32 vcc_lo, s3, v1
	global_load_b32 v2, v[6:7], off
	global_load_b32 v6, v[8:9], off
	v_add_co_u32 v4, s2, s10, v4
	s_delay_alu instid0(VALU_DEP_1)
	v_add_co_ci_u32_e64 v5, s2, s11, v5, s2
	s_or_b32 s24, vcc_lo, s24
	s_waitcnt vmcnt(0)
	v_add3_u32 v2, v2, v6, v3
	v_subrev_nc_u32_e32 v3, s23, v3
	global_store_b32 v[4:5], v2, off
	s_and_not1_b32 exec_lo, exec_lo, s24
	s_cbranch_execnz .LBB1_2
.LBB1_3:
	s_or_b32 exec_lo, exec_lo, s22
	s_waitcnt_vscnt null, 0x0
	s_barrier
	buffer_gl0_inv
	s_mov_b32 s2, exec_lo
	v_cmpx_gt_i32_e64 s3, v0
	s_cbranch_execz .LBB1_12
; %bb.4:
	s_load_b32 s0, s[0:1], 0x64
	s_mov_b32 s24, 0
	s_waitcnt lgkmcnt(0)
	s_and_b32 s2, s0, 0xffff
	s_add_u32 s22, s10, 4
	s_addc_u32 s23, s11, 0
	s_branch .LBB1_6
.LBB1_5:                                ;   in Loop: Header=BB1_6 Depth=1
	s_set_inst_prefetch_distance 0x2
	s_or_b32 exec_lo, exec_lo, s25
	v_add_nc_u32_e32 v0, s2, v0
	s_delay_alu instid0(VALU_DEP_1) | instskip(SKIP_1) | instid1(SALU_CYCLE_1)
	v_cmp_le_i32_e32 vcc_lo, s3, v0
	s_or_b32 s24, vcc_lo, s24
	s_and_not1_b32 exec_lo, exec_lo, s24
	s_cbranch_execz .LBB1_12
.LBB1_6:                                ; =>This Loop Header: Depth=1
                                        ;     Child Loop BB1_8 Depth 2
                                        ;     Child Loop BB1_11 Depth 2
	v_ashrrev_i32_e32 v1, 31, v0
	s_mov_b32 s25, exec_lo
	s_delay_alu instid0(VALU_DEP_1) | instskip(NEXT) | instid1(VALU_DEP_1)
	v_lshlrev_b64 v[1:2], 2, v[0:1]
	v_add_co_u32 v3, vcc_lo, s12, v1
	s_delay_alu instid0(VALU_DEP_2) | instskip(SKIP_3) | instid1(VALU_DEP_1)
	v_add_co_ci_u32_e32 v4, vcc_lo, s13, v2, vcc_lo
	global_load_b64 v[3:4], v[3:4], off
	s_waitcnt vmcnt(0)
	v_add_nc_u32_e32 v10, -1, v4
	v_cmpx_lt_i32_e64 v3, v10
	s_cbranch_execz .LBB1_9
; %bb.7:                                ;   in Loop: Header=BB1_6 Depth=1
	v_ashrrev_i32_e32 v4, 31, v3
	s_mov_b32 s26, 0
	s_mov_b32 s27, 0
	s_delay_alu instid0(VALU_DEP_1) | instskip(SKIP_2) | instid1(VALU_DEP_3)
	v_lshlrev_b64 v[8:9], 2, v[3:4]
	v_add_co_u32 v4, vcc_lo, s10, v1
	v_add_co_ci_u32_e32 v5, vcc_lo, s11, v2, vcc_lo
	v_add_co_u32 v6, vcc_lo, s14, v8
	s_delay_alu instid0(VALU_DEP_4)
	v_add_co_ci_u32_e32 v7, vcc_lo, s15, v9, vcc_lo
	v_add_co_u32 v8, vcc_lo, s20, v8
	v_add_co_ci_u32_e32 v9, vcc_lo, s21, v9, vcc_lo
	s_set_inst_prefetch_distance 0x1
	.p2align	6
.LBB1_8:                                ;   Parent Loop BB1_6 Depth=1
                                        ; =>  This Inner Loop Header: Depth=2
	global_load_b32 v11, v[4:5], off
	global_load_b32 v15, v[6:7], off
	;; [unrolled: 1-line block ×3, first 2 shown]
	v_add_co_u32 v6, vcc_lo, v6, 4
	v_add_co_ci_u32_e32 v7, vcc_lo, 0, v7, vcc_lo
	v_add_co_u32 v8, vcc_lo, v8, 4
	v_add_co_ci_u32_e32 v9, vcc_lo, 0, v9, vcc_lo
	s_waitcnt vmcnt(2)
	v_add_nc_u32_e32 v11, s27, v11
	s_add_i32 s27, s27, 1
	s_delay_alu instid0(SALU_CYCLE_1) | instskip(NEXT) | instid1(VALU_DEP_2)
	v_add_nc_u32_e32 v13, s27, v3
	v_ashrrev_i32_e32 v12, 31, v11
	s_delay_alu instid0(VALU_DEP_2) | instskip(NEXT) | instid1(VALU_DEP_2)
	v_cmp_ge_i32_e64 s0, v13, v10
	v_lshlrev_b64 v[11:12], 2, v[11:12]
	s_delay_alu instid0(VALU_DEP_2) | instskip(NEXT) | instid1(VALU_DEP_1)
	s_or_b32 s26, s0, s26
	v_add_co_u32 v13, s1, s16, v11
	s_delay_alu instid0(VALU_DEP_1) | instskip(SKIP_1) | instid1(VALU_DEP_1)
	v_add_co_ci_u32_e64 v14, s1, s17, v12, s1
	v_add_co_u32 v11, s1, s18, v11
	v_add_co_ci_u32_e64 v12, s1, s19, v12, s1
	s_waitcnt vmcnt(1)
	global_store_b32 v[13:14], v15, off
	s_waitcnt vmcnt(0)
	global_store_b32 v[11:12], v16, off
	s_and_not1_b32 exec_lo, exec_lo, s26
	s_cbranch_execnz .LBB1_8
.LBB1_9:                                ;   in Loop: Header=BB1_6 Depth=1
	s_set_inst_prefetch_distance 0x2
	s_or_b32 exec_lo, exec_lo, s25
	v_add_co_u32 v3, vcc_lo, s4, v1
	v_add_co_ci_u32_e32 v4, vcc_lo, s5, v2, vcc_lo
	s_mov_b32 s25, exec_lo
	global_load_b64 v[3:4], v[3:4], off
	s_waitcnt vmcnt(0)
	v_cmpx_lt_i32_e64 v3, v4
	s_cbranch_execz .LBB1_5
; %bb.10:                               ;   in Loop: Header=BB1_6 Depth=1
	v_ashrrev_i32_e32 v6, 31, v3
	v_mov_b32_e32 v5, v3
	v_add_co_u32 v1, vcc_lo, s22, v1
	v_add_co_ci_u32_e32 v2, vcc_lo, s23, v2, vcc_lo
	s_delay_alu instid0(VALU_DEP_3) | instskip(SKIP_2) | instid1(VALU_DEP_2)
	v_lshlrev_b64 v[7:8], 2, v[5:6]
	v_sub_nc_u32_e32 v9, 0, v4
	s_mov_b32 s26, 0
	v_add_co_u32 v5, vcc_lo, s6, v7
	s_delay_alu instid0(VALU_DEP_3)
	v_add_co_ci_u32_e32 v6, vcc_lo, s7, v8, vcc_lo
	v_add_co_u32 v7, vcc_lo, s8, v7
	v_add_co_ci_u32_e32 v8, vcc_lo, s9, v8, vcc_lo
	s_set_inst_prefetch_distance 0x1
	.p2align	6
.LBB1_11:                               ;   Parent Loop BB1_6 Depth=1
                                        ; =>  This Inner Loop Header: Depth=2
	global_load_b32 v10, v[1:2], off
	global_load_b32 v14, v[5:6], off
	global_load_b32 v15, v[7:8], off
	v_add_co_u32 v5, vcc_lo, v5, 4
	v_add_co_ci_u32_e32 v6, vcc_lo, 0, v6, vcc_lo
	v_add_co_u32 v7, vcc_lo, v7, 4
	v_add_co_ci_u32_e32 v8, vcc_lo, 0, v8, vcc_lo
	s_waitcnt vmcnt(2)
	v_add3_u32 v10, v9, v3, v10
	v_add_nc_u32_e32 v3, 1, v3
	s_delay_alu instid0(VALU_DEP_2) | instskip(NEXT) | instid1(VALU_DEP_2)
	v_ashrrev_i32_e32 v11, 31, v10
	v_cmp_ge_i32_e64 s0, v3, v4
	s_delay_alu instid0(VALU_DEP_2) | instskip(NEXT) | instid1(VALU_DEP_2)
	v_lshlrev_b64 v[10:11], 2, v[10:11]
	s_or_b32 s26, s0, s26
	s_delay_alu instid0(VALU_DEP_1) | instskip(NEXT) | instid1(VALU_DEP_1)
	v_add_co_u32 v12, s1, s16, v10
	v_add_co_ci_u32_e64 v13, s1, s17, v11, s1
	v_add_co_u32 v10, s1, s18, v10
	s_delay_alu instid0(VALU_DEP_1)
	v_add_co_ci_u32_e64 v11, s1, s19, v11, s1
	s_waitcnt vmcnt(1)
	global_store_b32 v[12:13], v14, off
	s_waitcnt vmcnt(0)
	global_store_b32 v[10:11], v15, off
	s_and_not1_b32 exec_lo, exec_lo, s26
	s_cbranch_execnz .LBB1_11
	s_branch .LBB1_5
.LBB1_12:
	s_nop 0
	s_sendmsg sendmsg(MSG_DEALLOC_VGPRS)
	s_endpgm
	.section	.rodata,"a",@progbits
	.p2align	6, 0x0
	.amdhsa_kernel _ZN9rocsolver6v33100L15rf_sumLU_kernelIfEEviiPiS2_PT_iS2_S2_S4_S2_S2_S4_
		.amdhsa_group_segment_fixed_size 0
		.amdhsa_private_segment_fixed_size 0
		.amdhsa_kernarg_size 344
		.amdhsa_user_sgpr_count 15
		.amdhsa_user_sgpr_dispatch_ptr 0
		.amdhsa_user_sgpr_queue_ptr 0
		.amdhsa_user_sgpr_kernarg_segment_ptr 1
		.amdhsa_user_sgpr_dispatch_id 0
		.amdhsa_user_sgpr_private_segment_size 0
		.amdhsa_wavefront_size32 1
		.amdhsa_uses_dynamic_stack 0
		.amdhsa_enable_private_segment 0
		.amdhsa_system_sgpr_workgroup_id_x 1
		.amdhsa_system_sgpr_workgroup_id_y 0
		.amdhsa_system_sgpr_workgroup_id_z 0
		.amdhsa_system_sgpr_workgroup_info 0
		.amdhsa_system_vgpr_workitem_id 0
		.amdhsa_next_free_vgpr 17
		.amdhsa_next_free_sgpr 28
		.amdhsa_reserve_vcc 1
		.amdhsa_float_round_mode_32 0
		.amdhsa_float_round_mode_16_64 0
		.amdhsa_float_denorm_mode_32 3
		.amdhsa_float_denorm_mode_16_64 3
		.amdhsa_dx10_clamp 1
		.amdhsa_ieee_mode 1
		.amdhsa_fp16_overflow 0
		.amdhsa_workgroup_processor_mode 1
		.amdhsa_memory_ordered 1
		.amdhsa_forward_progress 0
		.amdhsa_shared_vgpr_count 0
		.amdhsa_exception_fp_ieee_invalid_op 0
		.amdhsa_exception_fp_denorm_src 0
		.amdhsa_exception_fp_ieee_div_zero 0
		.amdhsa_exception_fp_ieee_overflow 0
		.amdhsa_exception_fp_ieee_underflow 0
		.amdhsa_exception_fp_ieee_inexact 0
		.amdhsa_exception_int_div_zero 0
	.end_amdhsa_kernel
	.section	.text._ZN9rocsolver6v33100L15rf_sumLU_kernelIfEEviiPiS2_PT_iS2_S2_S4_S2_S2_S4_,"axG",@progbits,_ZN9rocsolver6v33100L15rf_sumLU_kernelIfEEviiPiS2_PT_iS2_S2_S4_S2_S2_S4_,comdat
.Lfunc_end1:
	.size	_ZN9rocsolver6v33100L15rf_sumLU_kernelIfEEviiPiS2_PT_iS2_S2_S4_S2_S2_S4_, .Lfunc_end1-_ZN9rocsolver6v33100L15rf_sumLU_kernelIfEEviiPiS2_PT_iS2_S2_S4_S2_S2_S4_
                                        ; -- End function
	.section	.AMDGPU.csdata,"",@progbits
; Kernel info:
; codeLenInByte = 928
; NumSgprs: 30
; NumVgprs: 17
; ScratchSize: 0
; MemoryBound: 0
; FloatMode: 240
; IeeeMode: 1
; LDSByteSize: 0 bytes/workgroup (compile time only)
; SGPRBlocks: 3
; VGPRBlocks: 2
; NumSGPRsForWavesPerEU: 30
; NumVGPRsForWavesPerEU: 17
; Occupancy: 16
; WaveLimiterHint : 1
; COMPUTE_PGM_RSRC2:SCRATCH_EN: 0
; COMPUTE_PGM_RSRC2:USER_SGPR: 15
; COMPUTE_PGM_RSRC2:TRAP_HANDLER: 0
; COMPUTE_PGM_RSRC2:TGID_X_EN: 1
; COMPUTE_PGM_RSRC2:TGID_Y_EN: 0
; COMPUTE_PGM_RSRC2:TGID_Z_EN: 0
; COMPUTE_PGM_RSRC2:TIDIG_COMP_CNT: 0
	.section	.text._ZN9rocsolver6v33100L15rf_sumLU_kernelIdEEviiPiS2_PT_iS2_S2_S4_S2_S2_S4_,"axG",@progbits,_ZN9rocsolver6v33100L15rf_sumLU_kernelIdEEviiPiS2_PT_iS2_S2_S4_S2_S2_S4_,comdat
	.globl	_ZN9rocsolver6v33100L15rf_sumLU_kernelIdEEviiPiS2_PT_iS2_S2_S4_S2_S2_S4_ ; -- Begin function _ZN9rocsolver6v33100L15rf_sumLU_kernelIdEEviiPiS2_PT_iS2_S2_S4_S2_S2_S4_
	.p2align	8
	.type	_ZN9rocsolver6v33100L15rf_sumLU_kernelIdEEviiPiS2_PT_iS2_S2_S4_S2_S2_S4_,@function
_ZN9rocsolver6v33100L15rf_sumLU_kernelIdEEviiPiS2_PT_iS2_S2_S4_S2_S2_S4_: ; @_ZN9rocsolver6v33100L15rf_sumLU_kernelIdEEviiPiS2_PT_iS2_S2_S4_S2_S2_S4_
; %bb.0:
	s_clause 0x4
	s_load_b32 s3, s[0:1], 0x0
	s_load_b128 s[12:15], s[0:1], 0x8
	s_load_b64 s[20:21], s[0:1], 0x18
	s_load_b256 s[4:11], s[0:1], 0x28
	s_load_b128 s[16:19], s[0:1], 0x48
	s_mov_b32 s22, exec_lo
	s_waitcnt lgkmcnt(0)
	v_cmpx_ge_i32_e64 s3, v0
	s_cbranch_execz .LBB2_3
; %bb.1:
	s_load_b32 s2, s[0:1], 0x64
	v_sub_nc_u32_e32 v3, 0, v0
	v_mov_b32_e32 v1, v0
	s_mov_b32 s24, 0
	s_waitcnt lgkmcnt(0)
	s_and_b32 s23, s2, 0xffff
	.p2align	6
.LBB2_2:                                ; =>This Inner Loop Header: Depth=1
	s_delay_alu instid0(VALU_DEP_1) | instskip(NEXT) | instid1(VALU_DEP_1)
	v_ashrrev_i32_e32 v2, 31, v1
	v_lshlrev_b64 v[4:5], 2, v[1:2]
	v_add_nc_u32_e32 v1, s23, v1
	s_delay_alu instid0(VALU_DEP_2) | instskip(NEXT) | instid1(VALU_DEP_3)
	v_add_co_u32 v6, vcc_lo, s12, v4
	v_add_co_ci_u32_e32 v7, vcc_lo, s13, v5, vcc_lo
	v_add_co_u32 v8, vcc_lo, s4, v4
	v_add_co_ci_u32_e32 v9, vcc_lo, s5, v5, vcc_lo
	v_cmp_lt_i32_e32 vcc_lo, s3, v1
	global_load_b32 v2, v[6:7], off
	global_load_b32 v6, v[8:9], off
	v_add_co_u32 v4, s2, s10, v4
	s_delay_alu instid0(VALU_DEP_1)
	v_add_co_ci_u32_e64 v5, s2, s11, v5, s2
	s_or_b32 s24, vcc_lo, s24
	s_waitcnt vmcnt(0)
	v_add3_u32 v2, v2, v6, v3
	v_subrev_nc_u32_e32 v3, s23, v3
	global_store_b32 v[4:5], v2, off
	s_and_not1_b32 exec_lo, exec_lo, s24
	s_cbranch_execnz .LBB2_2
.LBB2_3:
	s_or_b32 exec_lo, exec_lo, s22
	s_waitcnt_vscnt null, 0x0
	s_barrier
	buffer_gl0_inv
	s_mov_b32 s2, exec_lo
	v_cmpx_gt_i32_e64 s3, v0
	s_cbranch_execz .LBB2_12
; %bb.4:
	s_load_b32 s0, s[0:1], 0x64
	s_mov_b32 s24, 0
	s_waitcnt lgkmcnt(0)
	s_and_b32 s2, s0, 0xffff
	s_add_u32 s22, s10, 4
	s_addc_u32 s23, s11, 0
	s_branch .LBB2_6
.LBB2_5:                                ;   in Loop: Header=BB2_6 Depth=1
	s_set_inst_prefetch_distance 0x2
	s_or_b32 exec_lo, exec_lo, s25
	v_add_nc_u32_e32 v0, s2, v0
	s_delay_alu instid0(VALU_DEP_1) | instskip(SKIP_1) | instid1(SALU_CYCLE_1)
	v_cmp_le_i32_e32 vcc_lo, s3, v0
	s_or_b32 s24, vcc_lo, s24
	s_and_not1_b32 exec_lo, exec_lo, s24
	s_cbranch_execz .LBB2_12
.LBB2_6:                                ; =>This Loop Header: Depth=1
                                        ;     Child Loop BB2_8 Depth 2
                                        ;     Child Loop BB2_11 Depth 2
	v_ashrrev_i32_e32 v1, 31, v0
	s_mov_b32 s25, exec_lo
	s_delay_alu instid0(VALU_DEP_1) | instskip(NEXT) | instid1(VALU_DEP_1)
	v_lshlrev_b64 v[1:2], 2, v[0:1]
	v_add_co_u32 v3, vcc_lo, s12, v1
	s_delay_alu instid0(VALU_DEP_2) | instskip(SKIP_3) | instid1(VALU_DEP_1)
	v_add_co_ci_u32_e32 v4, vcc_lo, s13, v2, vcc_lo
	global_load_b64 v[3:4], v[3:4], off
	s_waitcnt vmcnt(0)
	v_add_nc_u32_e32 v11, -1, v4
	v_cmpx_lt_i32_e64 v3, v11
	s_cbranch_execz .LBB2_9
; %bb.7:                                ;   in Loop: Header=BB2_6 Depth=1
	v_ashrrev_i32_e32 v4, 31, v3
	v_add_co_u32 v5, vcc_lo, s10, v1
	v_add_co_ci_u32_e32 v6, vcc_lo, s11, v2, vcc_lo
	s_delay_alu instid0(VALU_DEP_3) | instskip(SKIP_3) | instid1(VALU_DEP_2)
	v_lshlrev_b64 v[7:8], 2, v[3:4]
	v_lshlrev_b64 v[9:10], 3, v[3:4]
	s_mov_b32 s26, 0
	s_mov_b32 s27, 0
	v_add_co_u32 v7, vcc_lo, s14, v7
	s_delay_alu instid0(VALU_DEP_3) | instskip(NEXT) | instid1(VALU_DEP_3)
	v_add_co_ci_u32_e32 v8, vcc_lo, s15, v8, vcc_lo
	v_add_co_u32 v9, vcc_lo, s20, v9
	v_add_co_ci_u32_e32 v10, vcc_lo, s21, v10, vcc_lo
	s_set_inst_prefetch_distance 0x1
	.p2align	6
.LBB2_8:                                ;   Parent Loop BB2_6 Depth=1
                                        ; =>  This Inner Loop Header: Depth=2
	global_load_b32 v4, v[5:6], off
	global_load_b32 v18, v[7:8], off
	global_load_b64 v[12:13], v[9:10], off
	v_add_co_u32 v7, vcc_lo, v7, 4
	v_add_co_ci_u32_e32 v8, vcc_lo, 0, v8, vcc_lo
	v_add_co_u32 v9, vcc_lo, v9, 8
	v_add_co_ci_u32_e32 v10, vcc_lo, 0, v10, vcc_lo
	s_waitcnt vmcnt(2)
	v_add_nc_u32_e32 v14, s27, v4
	s_add_i32 s27, s27, 1
	s_delay_alu instid0(SALU_CYCLE_1) | instskip(NEXT) | instid1(VALU_DEP_2)
	v_add_nc_u32_e32 v4, s27, v3
	v_ashrrev_i32_e32 v15, 31, v14
	s_delay_alu instid0(VALU_DEP_2) | instskip(NEXT) | instid1(VALU_DEP_2)
	v_cmp_ge_i32_e64 s0, v4, v11
	v_lshlrev_b64 v[16:17], 2, v[14:15]
	v_lshlrev_b64 v[14:15], 3, v[14:15]
	s_delay_alu instid0(VALU_DEP_3) | instskip(NEXT) | instid1(VALU_DEP_2)
	s_or_b32 s26, s0, s26
	v_add_co_u32 v16, s1, s16, v16
	s_delay_alu instid0(VALU_DEP_1) | instskip(NEXT) | instid1(VALU_DEP_3)
	v_add_co_ci_u32_e64 v17, s1, s17, v17, s1
	v_add_co_u32 v14, s1, s18, v14
	s_delay_alu instid0(VALU_DEP_1)
	v_add_co_ci_u32_e64 v15, s1, s19, v15, s1
	s_waitcnt vmcnt(1)
	global_store_b32 v[16:17], v18, off
	s_waitcnt vmcnt(0)
	global_store_b64 v[14:15], v[12:13], off
	s_and_not1_b32 exec_lo, exec_lo, s26
	s_cbranch_execnz .LBB2_8
.LBB2_9:                                ;   in Loop: Header=BB2_6 Depth=1
	s_set_inst_prefetch_distance 0x2
	s_or_b32 exec_lo, exec_lo, s25
	v_add_co_u32 v3, vcc_lo, s4, v1
	v_add_co_ci_u32_e32 v4, vcc_lo, s5, v2, vcc_lo
	s_mov_b32 s25, exec_lo
	global_load_b64 v[3:4], v[3:4], off
	s_waitcnt vmcnt(0)
	v_cmpx_lt_i32_e64 v3, v4
	s_cbranch_execz .LBB2_5
; %bb.10:                               ;   in Loop: Header=BB2_6 Depth=1
	v_ashrrev_i32_e32 v6, 31, v3
	v_mov_b32_e32 v5, v3
	v_add_co_u32 v1, vcc_lo, s22, v1
	v_add_co_ci_u32_e32 v2, vcc_lo, s23, v2, vcc_lo
	s_delay_alu instid0(VALU_DEP_3) | instskip(SKIP_3) | instid1(VALU_DEP_3)
	v_lshlrev_b64 v[7:8], 2, v[5:6]
	v_lshlrev_b64 v[10:11], 3, v[5:6]
	v_sub_nc_u32_e32 v9, 0, v4
	s_mov_b32 s26, 0
	v_add_co_u32 v5, vcc_lo, s6, v7
	s_delay_alu instid0(VALU_DEP_4) | instskip(NEXT) | instid1(VALU_DEP_4)
	v_add_co_ci_u32_e32 v6, vcc_lo, s7, v8, vcc_lo
	v_add_co_u32 v7, vcc_lo, s8, v10
	v_add_co_ci_u32_e32 v8, vcc_lo, s9, v11, vcc_lo
	s_set_inst_prefetch_distance 0x1
	.p2align	6
.LBB2_11:                               ;   Parent Loop BB2_6 Depth=1
                                        ; =>  This Inner Loop Header: Depth=2
	global_load_b32 v12, v[1:2], off
	global_load_b32 v16, v[5:6], off
	global_load_b64 v[10:11], v[7:8], off
	v_add_co_u32 v5, vcc_lo, v5, 4
	v_add_co_ci_u32_e32 v6, vcc_lo, 0, v6, vcc_lo
	v_add_co_u32 v7, vcc_lo, v7, 8
	v_add_co_ci_u32_e32 v8, vcc_lo, 0, v8, vcc_lo
	s_waitcnt vmcnt(2)
	v_add3_u32 v12, v9, v3, v12
	v_add_nc_u32_e32 v3, 1, v3
	s_delay_alu instid0(VALU_DEP_2) | instskip(NEXT) | instid1(VALU_DEP_2)
	v_ashrrev_i32_e32 v13, 31, v12
	v_cmp_ge_i32_e64 s0, v3, v4
	s_delay_alu instid0(VALU_DEP_2) | instskip(SKIP_1) | instid1(VALU_DEP_3)
	v_lshlrev_b64 v[14:15], 2, v[12:13]
	v_lshlrev_b64 v[12:13], 3, v[12:13]
	s_or_b32 s26, s0, s26
	s_delay_alu instid0(VALU_DEP_2) | instskip(NEXT) | instid1(VALU_DEP_1)
	v_add_co_u32 v14, s1, s16, v14
	v_add_co_ci_u32_e64 v15, s1, s17, v15, s1
	s_delay_alu instid0(VALU_DEP_3) | instskip(NEXT) | instid1(VALU_DEP_1)
	v_add_co_u32 v12, s1, s18, v12
	v_add_co_ci_u32_e64 v13, s1, s19, v13, s1
	s_waitcnt vmcnt(1)
	global_store_b32 v[14:15], v16, off
	s_waitcnt vmcnt(0)
	global_store_b64 v[12:13], v[10:11], off
	s_and_not1_b32 exec_lo, exec_lo, s26
	s_cbranch_execnz .LBB2_11
	s_branch .LBB2_5
.LBB2_12:
	s_nop 0
	s_sendmsg sendmsg(MSG_DEALLOC_VGPRS)
	s_endpgm
	.section	.rodata,"a",@progbits
	.p2align	6, 0x0
	.amdhsa_kernel _ZN9rocsolver6v33100L15rf_sumLU_kernelIdEEviiPiS2_PT_iS2_S2_S4_S2_S2_S4_
		.amdhsa_group_segment_fixed_size 0
		.amdhsa_private_segment_fixed_size 0
		.amdhsa_kernarg_size 344
		.amdhsa_user_sgpr_count 15
		.amdhsa_user_sgpr_dispatch_ptr 0
		.amdhsa_user_sgpr_queue_ptr 0
		.amdhsa_user_sgpr_kernarg_segment_ptr 1
		.amdhsa_user_sgpr_dispatch_id 0
		.amdhsa_user_sgpr_private_segment_size 0
		.amdhsa_wavefront_size32 1
		.amdhsa_uses_dynamic_stack 0
		.amdhsa_enable_private_segment 0
		.amdhsa_system_sgpr_workgroup_id_x 1
		.amdhsa_system_sgpr_workgroup_id_y 0
		.amdhsa_system_sgpr_workgroup_id_z 0
		.amdhsa_system_sgpr_workgroup_info 0
		.amdhsa_system_vgpr_workitem_id 0
		.amdhsa_next_free_vgpr 19
		.amdhsa_next_free_sgpr 28
		.amdhsa_reserve_vcc 1
		.amdhsa_float_round_mode_32 0
		.amdhsa_float_round_mode_16_64 0
		.amdhsa_float_denorm_mode_32 3
		.amdhsa_float_denorm_mode_16_64 3
		.amdhsa_dx10_clamp 1
		.amdhsa_ieee_mode 1
		.amdhsa_fp16_overflow 0
		.amdhsa_workgroup_processor_mode 1
		.amdhsa_memory_ordered 1
		.amdhsa_forward_progress 0
		.amdhsa_shared_vgpr_count 0
		.amdhsa_exception_fp_ieee_invalid_op 0
		.amdhsa_exception_fp_denorm_src 0
		.amdhsa_exception_fp_ieee_div_zero 0
		.amdhsa_exception_fp_ieee_overflow 0
		.amdhsa_exception_fp_ieee_underflow 0
		.amdhsa_exception_fp_ieee_inexact 0
		.amdhsa_exception_int_div_zero 0
	.end_amdhsa_kernel
	.section	.text._ZN9rocsolver6v33100L15rf_sumLU_kernelIdEEviiPiS2_PT_iS2_S2_S4_S2_S2_S4_,"axG",@progbits,_ZN9rocsolver6v33100L15rf_sumLU_kernelIdEEviiPiS2_PT_iS2_S2_S4_S2_S2_S4_,comdat
.Lfunc_end2:
	.size	_ZN9rocsolver6v33100L15rf_sumLU_kernelIdEEviiPiS2_PT_iS2_S2_S4_S2_S2_S4_, .Lfunc_end2-_ZN9rocsolver6v33100L15rf_sumLU_kernelIdEEviiPiS2_PT_iS2_S2_S4_S2_S2_S4_
                                        ; -- End function
	.section	.AMDGPU.csdata,"",@progbits
; Kernel info:
; codeLenInByte = 964
; NumSgprs: 30
; NumVgprs: 19
; ScratchSize: 0
; MemoryBound: 0
; FloatMode: 240
; IeeeMode: 1
; LDSByteSize: 0 bytes/workgroup (compile time only)
; SGPRBlocks: 3
; VGPRBlocks: 2
; NumSGPRsForWavesPerEU: 30
; NumVGPRsForWavesPerEU: 19
; Occupancy: 16
; WaveLimiterHint : 1
; COMPUTE_PGM_RSRC2:SCRATCH_EN: 0
; COMPUTE_PGM_RSRC2:USER_SGPR: 15
; COMPUTE_PGM_RSRC2:TRAP_HANDLER: 0
; COMPUTE_PGM_RSRC2:TGID_X_EN: 1
; COMPUTE_PGM_RSRC2:TGID_Y_EN: 0
; COMPUTE_PGM_RSRC2:TGID_Z_EN: 0
; COMPUTE_PGM_RSRC2:TIDIG_COMP_CNT: 0
	.text
	.p2alignl 7, 3214868480
	.fill 96, 4, 3214868480
	.type	__hip_cuid_44a42237f988f6e9,@object ; @__hip_cuid_44a42237f988f6e9
	.section	.bss,"aw",@nobits
	.globl	__hip_cuid_44a42237f988f6e9
__hip_cuid_44a42237f988f6e9:
	.byte	0                               ; 0x0
	.size	__hip_cuid_44a42237f988f6e9, 1

	.ident	"AMD clang version 19.0.0git (https://github.com/RadeonOpenCompute/llvm-project roc-6.4.0 25133 c7fe45cf4b819c5991fe208aaa96edf142730f1d)"
	.section	".note.GNU-stack","",@progbits
	.addrsig
	.addrsig_sym __hip_cuid_44a42237f988f6e9
	.amdgpu_metadata
---
amdhsa.kernels:
  - .args:
      - .address_space:  global
        .offset:         0
        .size:           8
        .value_kind:     global_buffer
      - .offset:         8
        .size:           4
        .value_kind:     by_value
      - .offset:         12
        .size:           4
        .value_kind:     by_value
      - .offset:         16
        .size:           4
        .value_kind:     by_value
      - .offset:         24
        .size:           4
        .value_kind:     hidden_block_count_x
      - .offset:         28
        .size:           4
        .value_kind:     hidden_block_count_y
      - .offset:         32
        .size:           4
        .value_kind:     hidden_block_count_z
      - .offset:         36
        .size:           2
        .value_kind:     hidden_group_size_x
      - .offset:         38
        .size:           2
        .value_kind:     hidden_group_size_y
      - .offset:         40
        .size:           2
        .value_kind:     hidden_group_size_z
      - .offset:         42
        .size:           2
        .value_kind:     hidden_remainder_x
      - .offset:         44
        .size:           2
        .value_kind:     hidden_remainder_y
      - .offset:         46
        .size:           2
        .value_kind:     hidden_remainder_z
      - .offset:         64
        .size:           8
        .value_kind:     hidden_global_offset_x
      - .offset:         72
        .size:           8
        .value_kind:     hidden_global_offset_y
      - .offset:         80
        .size:           8
        .value_kind:     hidden_global_offset_z
      - .offset:         88
        .size:           2
        .value_kind:     hidden_grid_dims
    .group_segment_fixed_size: 0
    .kernarg_segment_align: 8
    .kernarg_segment_size: 280
    .language:       OpenCL C
    .language_version:
      - 2
      - 0
    .max_flat_workgroup_size: 1024
    .name:           _ZN9rocsolver6v33100L10reset_infoIiiiEEvPT_T0_T1_S4_
    .private_segment_fixed_size: 0
    .sgpr_count:     18
    .sgpr_spill_count: 0
    .symbol:         _ZN9rocsolver6v33100L10reset_infoIiiiEEvPT_T0_T1_S4_.kd
    .uniform_work_group_size: 1
    .uses_dynamic_stack: false
    .vgpr_count:     6
    .vgpr_spill_count: 0
    .wavefront_size: 32
    .workgroup_processor_mode: 1
  - .args:
      - .offset:         0
        .size:           4
        .value_kind:     by_value
      - .offset:         4
        .size:           4
        .value_kind:     by_value
      - .address_space:  global
        .offset:         8
        .size:           8
        .value_kind:     global_buffer
      - .address_space:  global
        .offset:         16
        .size:           8
        .value_kind:     global_buffer
      - .address_space:  global
        .offset:         24
        .size:           8
        .value_kind:     global_buffer
      - .offset:         32
        .size:           4
        .value_kind:     by_value
      - .address_space:  global
        .offset:         40
        .size:           8
        .value_kind:     global_buffer
      - .address_space:  global
        .offset:         48
        .size:           8
        .value_kind:     global_buffer
      - .address_space:  global
        .offset:         56
        .size:           8
        .value_kind:     global_buffer
      - .address_space:  global
        .offset:         64
        .size:           8
        .value_kind:     global_buffer
      - .address_space:  global
        .offset:         72
        .size:           8
        .value_kind:     global_buffer
      - .address_space:  global
        .offset:         80
        .size:           8
        .value_kind:     global_buffer
      - .offset:         88
        .size:           4
        .value_kind:     hidden_block_count_x
      - .offset:         92
        .size:           4
        .value_kind:     hidden_block_count_y
      - .offset:         96
        .size:           4
        .value_kind:     hidden_block_count_z
      - .offset:         100
        .size:           2
        .value_kind:     hidden_group_size_x
      - .offset:         102
        .size:           2
        .value_kind:     hidden_group_size_y
      - .offset:         104
        .size:           2
        .value_kind:     hidden_group_size_z
      - .offset:         106
        .size:           2
        .value_kind:     hidden_remainder_x
      - .offset:         108
        .size:           2
        .value_kind:     hidden_remainder_y
      - .offset:         110
        .size:           2
        .value_kind:     hidden_remainder_z
      - .offset:         128
        .size:           8
        .value_kind:     hidden_global_offset_x
      - .offset:         136
        .size:           8
        .value_kind:     hidden_global_offset_y
      - .offset:         144
        .size:           8
        .value_kind:     hidden_global_offset_z
      - .offset:         152
        .size:           2
        .value_kind:     hidden_grid_dims
    .group_segment_fixed_size: 0
    .kernarg_segment_align: 8
    .kernarg_segment_size: 344
    .language:       OpenCL C
    .language_version:
      - 2
      - 0
    .max_flat_workgroup_size: 1024
    .name:           _ZN9rocsolver6v33100L15rf_sumLU_kernelIfEEviiPiS2_PT_iS2_S2_S4_S2_S2_S4_
    .private_segment_fixed_size: 0
    .sgpr_count:     30
    .sgpr_spill_count: 0
    .symbol:         _ZN9rocsolver6v33100L15rf_sumLU_kernelIfEEviiPiS2_PT_iS2_S2_S4_S2_S2_S4_.kd
    .uniform_work_group_size: 1
    .uses_dynamic_stack: false
    .vgpr_count:     17
    .vgpr_spill_count: 0
    .wavefront_size: 32
    .workgroup_processor_mode: 1
  - .args:
      - .offset:         0
        .size:           4
        .value_kind:     by_value
      - .offset:         4
        .size:           4
        .value_kind:     by_value
      - .address_space:  global
        .offset:         8
        .size:           8
        .value_kind:     global_buffer
      - .address_space:  global
        .offset:         16
        .size:           8
        .value_kind:     global_buffer
      - .address_space:  global
        .offset:         24
        .size:           8
        .value_kind:     global_buffer
      - .offset:         32
        .size:           4
        .value_kind:     by_value
      - .address_space:  global
        .offset:         40
        .size:           8
        .value_kind:     global_buffer
      - .address_space:  global
        .offset:         48
        .size:           8
        .value_kind:     global_buffer
      - .address_space:  global
        .offset:         56
        .size:           8
        .value_kind:     global_buffer
      - .address_space:  global
        .offset:         64
        .size:           8
        .value_kind:     global_buffer
      - .address_space:  global
        .offset:         72
        .size:           8
        .value_kind:     global_buffer
      - .address_space:  global
        .offset:         80
        .size:           8
        .value_kind:     global_buffer
      - .offset:         88
        .size:           4
        .value_kind:     hidden_block_count_x
      - .offset:         92
        .size:           4
        .value_kind:     hidden_block_count_y
      - .offset:         96
        .size:           4
        .value_kind:     hidden_block_count_z
      - .offset:         100
        .size:           2
        .value_kind:     hidden_group_size_x
      - .offset:         102
        .size:           2
        .value_kind:     hidden_group_size_y
      - .offset:         104
        .size:           2
        .value_kind:     hidden_group_size_z
      - .offset:         106
        .size:           2
        .value_kind:     hidden_remainder_x
      - .offset:         108
        .size:           2
        .value_kind:     hidden_remainder_y
      - .offset:         110
        .size:           2
        .value_kind:     hidden_remainder_z
      - .offset:         128
        .size:           8
        .value_kind:     hidden_global_offset_x
      - .offset:         136
        .size:           8
        .value_kind:     hidden_global_offset_y
      - .offset:         144
        .size:           8
        .value_kind:     hidden_global_offset_z
      - .offset:         152
        .size:           2
        .value_kind:     hidden_grid_dims
    .group_segment_fixed_size: 0
    .kernarg_segment_align: 8
    .kernarg_segment_size: 344
    .language:       OpenCL C
    .language_version:
      - 2
      - 0
    .max_flat_workgroup_size: 1024
    .name:           _ZN9rocsolver6v33100L15rf_sumLU_kernelIdEEviiPiS2_PT_iS2_S2_S4_S2_S2_S4_
    .private_segment_fixed_size: 0
    .sgpr_count:     30
    .sgpr_spill_count: 0
    .symbol:         _ZN9rocsolver6v33100L15rf_sumLU_kernelIdEEviiPiS2_PT_iS2_S2_S4_S2_S2_S4_.kd
    .uniform_work_group_size: 1
    .uses_dynamic_stack: false
    .vgpr_count:     19
    .vgpr_spill_count: 0
    .wavefront_size: 32
    .workgroup_processor_mode: 1
amdhsa.target:   amdgcn-amd-amdhsa--gfx1100
amdhsa.version:
  - 1
  - 2
...

	.end_amdgpu_metadata
